;; amdgpu-corpus repo=ROCm/rocFFT kind=compiled arch=gfx1100 opt=O3
	.text
	.amdgcn_target "amdgcn-amd-amdhsa--gfx1100"
	.amdhsa_code_object_version 6
	.protected	fft_rtc_back_len1792_factors_4_4_4_4_7_wgs_224_tpt_224_halfLds_dp_ip_CI_unitstride_sbrr_dirReg ; -- Begin function fft_rtc_back_len1792_factors_4_4_4_4_7_wgs_224_tpt_224_halfLds_dp_ip_CI_unitstride_sbrr_dirReg
	.globl	fft_rtc_back_len1792_factors_4_4_4_4_7_wgs_224_tpt_224_halfLds_dp_ip_CI_unitstride_sbrr_dirReg
	.p2align	8
	.type	fft_rtc_back_len1792_factors_4_4_4_4_7_wgs_224_tpt_224_halfLds_dp_ip_CI_unitstride_sbrr_dirReg,@function
fft_rtc_back_len1792_factors_4_4_4_4_7_wgs_224_tpt_224_halfLds_dp_ip_CI_unitstride_sbrr_dirReg: ; @fft_rtc_back_len1792_factors_4_4_4_4_7_wgs_224_tpt_224_halfLds_dp_ip_CI_unitstride_sbrr_dirReg
; %bb.0:
	s_clause 0x2
	s_load_b128 s[4:7], s[0:1], 0x0
	s_load_b64 s[8:9], s[0:1], 0x50
	s_load_b64 s[10:11], s[0:1], 0x18
	v_mul_u32_u24_e32 v1, 0x125, v0
	v_mov_b32_e32 v3, 0
	v_mov_b32_e32 v4, 0
	s_delay_alu instid0(VALU_DEP_3) | instskip(SKIP_1) | instid1(VALU_DEP_1)
	v_lshrrev_b32_e32 v2, 16, v1
	v_mov_b32_e32 v1, 0
	v_dual_mov_b32 v6, v1 :: v_dual_add_nc_u32 v5, s15, v2
	s_waitcnt lgkmcnt(0)
	v_cmp_lt_u64_e64 s2, s[6:7], 2
	s_delay_alu instid0(VALU_DEP_1)
	s_and_b32 vcc_lo, exec_lo, s2
	s_cbranch_vccnz .LBB0_8
; %bb.1:
	s_load_b64 s[2:3], s[0:1], 0x10
	v_mov_b32_e32 v3, 0
	s_add_u32 s12, s10, 8
	v_mov_b32_e32 v4, 0
	s_addc_u32 s13, s11, 0
	s_mov_b64 s[16:17], 1
	s_waitcnt lgkmcnt(0)
	s_add_u32 s14, s2, 8
	s_addc_u32 s15, s3, 0
.LBB0_2:                                ; =>This Inner Loop Header: Depth=1
	s_load_b64 s[18:19], s[14:15], 0x0
                                        ; implicit-def: $vgpr7_vgpr8
	s_mov_b32 s2, exec_lo
	s_waitcnt lgkmcnt(0)
	v_or_b32_e32 v2, s19, v6
	s_delay_alu instid0(VALU_DEP_1)
	v_cmpx_ne_u64_e32 0, v[1:2]
	s_xor_b32 s3, exec_lo, s2
	s_cbranch_execz .LBB0_4
; %bb.3:                                ;   in Loop: Header=BB0_2 Depth=1
	v_cvt_f32_u32_e32 v2, s18
	v_cvt_f32_u32_e32 v7, s19
	s_sub_u32 s2, 0, s18
	s_subb_u32 s20, 0, s19
	s_delay_alu instid0(VALU_DEP_1) | instskip(NEXT) | instid1(VALU_DEP_1)
	v_fmac_f32_e32 v2, 0x4f800000, v7
	v_rcp_f32_e32 v2, v2
	s_waitcnt_depctr 0xfff
	v_mul_f32_e32 v2, 0x5f7ffffc, v2
	s_delay_alu instid0(VALU_DEP_1) | instskip(NEXT) | instid1(VALU_DEP_1)
	v_mul_f32_e32 v7, 0x2f800000, v2
	v_trunc_f32_e32 v7, v7
	s_delay_alu instid0(VALU_DEP_1) | instskip(SKIP_1) | instid1(VALU_DEP_2)
	v_fmac_f32_e32 v2, 0xcf800000, v7
	v_cvt_u32_f32_e32 v7, v7
	v_cvt_u32_f32_e32 v2, v2
	s_delay_alu instid0(VALU_DEP_2) | instskip(NEXT) | instid1(VALU_DEP_2)
	v_mul_lo_u32 v8, s2, v7
	v_mul_hi_u32 v9, s2, v2
	v_mul_lo_u32 v10, s20, v2
	s_delay_alu instid0(VALU_DEP_2) | instskip(SKIP_1) | instid1(VALU_DEP_2)
	v_add_nc_u32_e32 v8, v9, v8
	v_mul_lo_u32 v9, s2, v2
	v_add_nc_u32_e32 v8, v8, v10
	s_delay_alu instid0(VALU_DEP_2) | instskip(NEXT) | instid1(VALU_DEP_2)
	v_mul_hi_u32 v10, v2, v9
	v_mul_lo_u32 v11, v2, v8
	v_mul_hi_u32 v12, v2, v8
	v_mul_hi_u32 v13, v7, v9
	v_mul_lo_u32 v9, v7, v9
	v_mul_hi_u32 v14, v7, v8
	v_mul_lo_u32 v8, v7, v8
	v_add_co_u32 v10, vcc_lo, v10, v11
	v_add_co_ci_u32_e32 v11, vcc_lo, 0, v12, vcc_lo
	s_delay_alu instid0(VALU_DEP_2) | instskip(NEXT) | instid1(VALU_DEP_2)
	v_add_co_u32 v9, vcc_lo, v10, v9
	v_add_co_ci_u32_e32 v9, vcc_lo, v11, v13, vcc_lo
	v_add_co_ci_u32_e32 v10, vcc_lo, 0, v14, vcc_lo
	s_delay_alu instid0(VALU_DEP_2) | instskip(NEXT) | instid1(VALU_DEP_2)
	v_add_co_u32 v8, vcc_lo, v9, v8
	v_add_co_ci_u32_e32 v9, vcc_lo, 0, v10, vcc_lo
	s_delay_alu instid0(VALU_DEP_2) | instskip(NEXT) | instid1(VALU_DEP_2)
	v_add_co_u32 v2, vcc_lo, v2, v8
	v_add_co_ci_u32_e32 v7, vcc_lo, v7, v9, vcc_lo
	s_delay_alu instid0(VALU_DEP_2) | instskip(SKIP_1) | instid1(VALU_DEP_3)
	v_mul_hi_u32 v8, s2, v2
	v_mul_lo_u32 v10, s20, v2
	v_mul_lo_u32 v9, s2, v7
	s_delay_alu instid0(VALU_DEP_1) | instskip(SKIP_1) | instid1(VALU_DEP_2)
	v_add_nc_u32_e32 v8, v8, v9
	v_mul_lo_u32 v9, s2, v2
	v_add_nc_u32_e32 v8, v8, v10
	s_delay_alu instid0(VALU_DEP_2) | instskip(NEXT) | instid1(VALU_DEP_2)
	v_mul_hi_u32 v10, v2, v9
	v_mul_lo_u32 v11, v2, v8
	v_mul_hi_u32 v12, v2, v8
	v_mul_hi_u32 v13, v7, v9
	v_mul_lo_u32 v9, v7, v9
	v_mul_hi_u32 v14, v7, v8
	v_mul_lo_u32 v8, v7, v8
	v_add_co_u32 v10, vcc_lo, v10, v11
	v_add_co_ci_u32_e32 v11, vcc_lo, 0, v12, vcc_lo
	s_delay_alu instid0(VALU_DEP_2) | instskip(NEXT) | instid1(VALU_DEP_2)
	v_add_co_u32 v9, vcc_lo, v10, v9
	v_add_co_ci_u32_e32 v9, vcc_lo, v11, v13, vcc_lo
	v_add_co_ci_u32_e32 v10, vcc_lo, 0, v14, vcc_lo
	s_delay_alu instid0(VALU_DEP_2) | instskip(NEXT) | instid1(VALU_DEP_2)
	v_add_co_u32 v8, vcc_lo, v9, v8
	v_add_co_ci_u32_e32 v9, vcc_lo, 0, v10, vcc_lo
	s_delay_alu instid0(VALU_DEP_2) | instskip(NEXT) | instid1(VALU_DEP_2)
	v_add_co_u32 v2, vcc_lo, v2, v8
	v_add_co_ci_u32_e32 v13, vcc_lo, v7, v9, vcc_lo
	s_delay_alu instid0(VALU_DEP_2) | instskip(SKIP_1) | instid1(VALU_DEP_3)
	v_mul_hi_u32 v14, v5, v2
	v_mad_u64_u32 v[9:10], null, v6, v2, 0
	v_mad_u64_u32 v[7:8], null, v5, v13, 0
	;; [unrolled: 1-line block ×3, first 2 shown]
	s_delay_alu instid0(VALU_DEP_2) | instskip(NEXT) | instid1(VALU_DEP_3)
	v_add_co_u32 v2, vcc_lo, v14, v7
	v_add_co_ci_u32_e32 v7, vcc_lo, 0, v8, vcc_lo
	s_delay_alu instid0(VALU_DEP_2) | instskip(NEXT) | instid1(VALU_DEP_2)
	v_add_co_u32 v2, vcc_lo, v2, v9
	v_add_co_ci_u32_e32 v2, vcc_lo, v7, v10, vcc_lo
	v_add_co_ci_u32_e32 v7, vcc_lo, 0, v12, vcc_lo
	s_delay_alu instid0(VALU_DEP_2) | instskip(NEXT) | instid1(VALU_DEP_2)
	v_add_co_u32 v2, vcc_lo, v2, v11
	v_add_co_ci_u32_e32 v9, vcc_lo, 0, v7, vcc_lo
	s_delay_alu instid0(VALU_DEP_2) | instskip(SKIP_1) | instid1(VALU_DEP_3)
	v_mul_lo_u32 v10, s19, v2
	v_mad_u64_u32 v[7:8], null, s18, v2, 0
	v_mul_lo_u32 v11, s18, v9
	s_delay_alu instid0(VALU_DEP_2) | instskip(NEXT) | instid1(VALU_DEP_2)
	v_sub_co_u32 v7, vcc_lo, v5, v7
	v_add3_u32 v8, v8, v11, v10
	s_delay_alu instid0(VALU_DEP_1) | instskip(NEXT) | instid1(VALU_DEP_1)
	v_sub_nc_u32_e32 v10, v6, v8
	v_subrev_co_ci_u32_e64 v10, s2, s19, v10, vcc_lo
	v_add_co_u32 v11, s2, v2, 2
	s_delay_alu instid0(VALU_DEP_1) | instskip(SKIP_3) | instid1(VALU_DEP_3)
	v_add_co_ci_u32_e64 v12, s2, 0, v9, s2
	v_sub_co_u32 v13, s2, v7, s18
	v_sub_co_ci_u32_e32 v8, vcc_lo, v6, v8, vcc_lo
	v_subrev_co_ci_u32_e64 v10, s2, 0, v10, s2
	v_cmp_le_u32_e32 vcc_lo, s18, v13
	s_delay_alu instid0(VALU_DEP_3) | instskip(SKIP_1) | instid1(VALU_DEP_4)
	v_cmp_eq_u32_e64 s2, s19, v8
	v_cndmask_b32_e64 v13, 0, -1, vcc_lo
	v_cmp_le_u32_e32 vcc_lo, s19, v10
	v_cndmask_b32_e64 v14, 0, -1, vcc_lo
	v_cmp_le_u32_e32 vcc_lo, s18, v7
	;; [unrolled: 2-line block ×3, first 2 shown]
	v_cndmask_b32_e64 v15, 0, -1, vcc_lo
	v_cmp_eq_u32_e32 vcc_lo, s19, v10
	s_delay_alu instid0(VALU_DEP_2) | instskip(SKIP_3) | instid1(VALU_DEP_3)
	v_cndmask_b32_e64 v7, v15, v7, s2
	v_cndmask_b32_e32 v10, v14, v13, vcc_lo
	v_add_co_u32 v13, vcc_lo, v2, 1
	v_add_co_ci_u32_e32 v14, vcc_lo, 0, v9, vcc_lo
	v_cmp_ne_u32_e32 vcc_lo, 0, v10
	s_delay_alu instid0(VALU_DEP_2) | instskip(NEXT) | instid1(VALU_DEP_4)
	v_cndmask_b32_e32 v8, v14, v12, vcc_lo
	v_cndmask_b32_e32 v10, v13, v11, vcc_lo
	v_cmp_ne_u32_e32 vcc_lo, 0, v7
	s_delay_alu instid0(VALU_DEP_2)
	v_dual_cndmask_b32 v7, v2, v10 :: v_dual_cndmask_b32 v8, v9, v8
.LBB0_4:                                ;   in Loop: Header=BB0_2 Depth=1
	s_and_not1_saveexec_b32 s2, s3
	s_cbranch_execz .LBB0_6
; %bb.5:                                ;   in Loop: Header=BB0_2 Depth=1
	v_cvt_f32_u32_e32 v2, s18
	s_sub_i32 s3, 0, s18
	s_delay_alu instid0(VALU_DEP_1) | instskip(SKIP_2) | instid1(VALU_DEP_1)
	v_rcp_iflag_f32_e32 v2, v2
	s_waitcnt_depctr 0xfff
	v_mul_f32_e32 v2, 0x4f7ffffe, v2
	v_cvt_u32_f32_e32 v2, v2
	s_delay_alu instid0(VALU_DEP_1) | instskip(NEXT) | instid1(VALU_DEP_1)
	v_mul_lo_u32 v7, s3, v2
	v_mul_hi_u32 v7, v2, v7
	s_delay_alu instid0(VALU_DEP_1) | instskip(NEXT) | instid1(VALU_DEP_1)
	v_add_nc_u32_e32 v2, v2, v7
	v_mul_hi_u32 v2, v5, v2
	s_delay_alu instid0(VALU_DEP_1) | instskip(SKIP_1) | instid1(VALU_DEP_2)
	v_mul_lo_u32 v7, v2, s18
	v_add_nc_u32_e32 v8, 1, v2
	v_sub_nc_u32_e32 v7, v5, v7
	s_delay_alu instid0(VALU_DEP_1) | instskip(SKIP_1) | instid1(VALU_DEP_2)
	v_subrev_nc_u32_e32 v9, s18, v7
	v_cmp_le_u32_e32 vcc_lo, s18, v7
	v_dual_cndmask_b32 v7, v7, v9 :: v_dual_cndmask_b32 v2, v2, v8
	s_delay_alu instid0(VALU_DEP_1) | instskip(NEXT) | instid1(VALU_DEP_2)
	v_cmp_le_u32_e32 vcc_lo, s18, v7
	v_add_nc_u32_e32 v8, 1, v2
	s_delay_alu instid0(VALU_DEP_1)
	v_dual_cndmask_b32 v7, v2, v8 :: v_dual_mov_b32 v8, v1
.LBB0_6:                                ;   in Loop: Header=BB0_2 Depth=1
	s_or_b32 exec_lo, exec_lo, s2
	s_load_b64 s[2:3], s[12:13], 0x0
	s_delay_alu instid0(VALU_DEP_1) | instskip(NEXT) | instid1(VALU_DEP_2)
	v_mul_lo_u32 v2, v8, s18
	v_mul_lo_u32 v11, v7, s19
	v_mad_u64_u32 v[9:10], null, v7, s18, 0
	s_add_u32 s16, s16, 1
	s_addc_u32 s17, s17, 0
	s_add_u32 s12, s12, 8
	s_addc_u32 s13, s13, 0
	;; [unrolled: 2-line block ×3, first 2 shown]
	s_delay_alu instid0(VALU_DEP_1) | instskip(SKIP_1) | instid1(VALU_DEP_2)
	v_add3_u32 v2, v10, v11, v2
	v_sub_co_u32 v9, vcc_lo, v5, v9
	v_sub_co_ci_u32_e32 v2, vcc_lo, v6, v2, vcc_lo
	s_waitcnt lgkmcnt(0)
	s_delay_alu instid0(VALU_DEP_2) | instskip(NEXT) | instid1(VALU_DEP_2)
	v_mul_lo_u32 v10, s3, v9
	v_mul_lo_u32 v2, s2, v2
	v_mad_u64_u32 v[5:6], null, s2, v9, v[3:4]
	v_cmp_ge_u64_e64 s2, s[16:17], s[6:7]
	s_delay_alu instid0(VALU_DEP_1) | instskip(NEXT) | instid1(VALU_DEP_2)
	s_and_b32 vcc_lo, exec_lo, s2
	v_add3_u32 v4, v10, v6, v2
	s_delay_alu instid0(VALU_DEP_3)
	v_mov_b32_e32 v3, v5
	s_cbranch_vccnz .LBB0_9
; %bb.7:                                ;   in Loop: Header=BB0_2 Depth=1
	v_dual_mov_b32 v5, v7 :: v_dual_mov_b32 v6, v8
	s_branch .LBB0_2
.LBB0_8:
	v_dual_mov_b32 v8, v6 :: v_dual_mov_b32 v7, v5
.LBB0_9:
	s_lshl_b64 s[2:3], s[6:7], 3
                                        ; implicit-def: $vgpr10_vgpr11
                                        ; implicit-def: $vgpr22_vgpr23
                                        ; implicit-def: $vgpr26_vgpr27
                                        ; implicit-def: $vgpr14_vgpr15
                                        ; implicit-def: $vgpr30_vgpr31
                                        ; implicit-def: $vgpr18_vgpr19
	s_delay_alu instid0(SALU_CYCLE_1)
	s_add_u32 s2, s10, s2
	s_addc_u32 s3, s11, s3
	s_load_b64 s[2:3], s[2:3], 0x0
	s_load_b64 s[0:1], s[0:1], 0x20
	s_waitcnt lgkmcnt(0)
	v_mul_lo_u32 v5, s2, v8
	v_mul_lo_u32 v6, s3, v7
	v_mad_u64_u32 v[1:2], null, s2, v7, v[3:4]
	v_mul_hi_u32 v3, 0x124924a, v0
	v_cmp_gt_u64_e32 vcc_lo, s[0:1], v[7:8]
	s_delay_alu instid0(VALU_DEP_3) | instskip(NEXT) | instid1(VALU_DEP_3)
	v_add3_u32 v2, v6, v2, v5
                                        ; implicit-def: $vgpr6_vgpr7
	v_mul_u32_u24_e32 v3, 0xe0, v3
	s_delay_alu instid0(VALU_DEP_2) | instskip(NEXT) | instid1(VALU_DEP_2)
	v_lshlrev_b64 v[50:51], 4, v[1:2]
	v_sub_nc_u32_e32 v48, v0, v3
                                        ; implicit-def: $vgpr2_vgpr3
	s_and_saveexec_b32 s1, vcc_lo
	s_cbranch_execz .LBB0_11
; %bb.10:
	v_mov_b32_e32 v49, 0
	s_delay_alu instid0(VALU_DEP_3) | instskip(NEXT) | instid1(VALU_DEP_1)
	v_add_co_u32 v2, s0, s8, v50
	v_add_co_ci_u32_e64 v3, s0, s9, v51, s0
	s_delay_alu instid0(VALU_DEP_3) | instskip(NEXT) | instid1(VALU_DEP_1)
	v_lshlrev_b64 v[0:1], 4, v[48:49]
	v_add_co_u32 v8, s0, v2, v0
	s_delay_alu instid0(VALU_DEP_1) | instskip(NEXT) | instid1(VALU_DEP_2)
	v_add_co_ci_u32_e64 v9, s0, v3, v1, s0
	v_add_co_u32 v0, s0, 0x1000, v8
	s_delay_alu instid0(VALU_DEP_1) | instskip(SKIP_1) | instid1(VALU_DEP_1)
	v_add_co_ci_u32_e64 v1, s0, 0, v9, s0
	v_add_co_u32 v4, s0, 0x3000, v8
	v_add_co_ci_u32_e64 v5, s0, 0, v9, s0
	v_add_co_u32 v10, s0, 0x5000, v8
	s_delay_alu instid0(VALU_DEP_1) | instskip(SKIP_1) | instid1(VALU_DEP_1)
	v_add_co_ci_u32_e64 v11, s0, 0, v9, s0
	v_add_co_u32 v20, s0, 0x2000, v8
	;; [unrolled: 5-line block ×3, first 2 shown]
	v_add_co_ci_u32_e64 v25, s0, 0, v9, s0
	s_clause 0x7
	global_load_b128 v[0:3], v[0:1], off offset:3072
	global_load_b128 v[4:7], v[4:5], off offset:2048
	global_load_b128 v[16:19], v[8:9], off
	global_load_b128 v[12:15], v[8:9], off offset:3584
	global_load_b128 v[28:31], v[10:11], off offset:1024
	;; [unrolled: 1-line block ×5, first 2 shown]
.LBB0_11:
	s_or_b32 exec_lo, exec_lo, s1
	s_waitcnt vmcnt(5)
	v_add_f64 v[32:33], v[16:17], -v[4:5]
	s_waitcnt vmcnt(3)
	v_add_f64 v[28:29], v[0:1], -v[28:29]
	;; [unrolled: 2-line block ×4, first 2 shown]
	v_add_f64 v[36:37], v[18:19], -v[6:7]
	v_add_f64 v[4:5], v[2:3], -v[30:31]
	;; [unrolled: 1-line block ×4, first 2 shown]
	v_and_b32_e32 v49, 3, v48
	v_add_nc_u32_e32 v64, 0xe0, v48
	v_lshlrev_b32_e32 v71, 2, v48
	v_and_b32_e32 v68, 15, v48
	v_cmp_gt_u32_e64 s0, 32, v48
	s_delay_alu instid0(VALU_DEP_4)
	v_lshlrev_b32_e32 v72, 2, v64
	v_and_b32_e32 v73, 63, v64
	v_fma_f64 v[22:23], v[16:17], 2.0, -v[32:33]
	v_fma_f64 v[0:1], v[0:1], 2.0, -v[28:29]
	;; [unrolled: 1-line block ×8, first 2 shown]
	v_add_f64 v[4:5], v[4:5], v[32:33]
	v_add_f64 v[8:9], v[6:7], v[34:35]
	v_add_f64 v[2:3], v[22:23], -v[0:1]
	v_lshl_add_u32 v0, v48, 5, 0
	v_add_f64 v[6:7], v[26:27], -v[12:13]
	v_add_f64 v[12:13], v[36:37], -v[28:29]
	;; [unrolled: 1-line block ×5, first 2 shown]
	v_fma_f64 v[20:21], v[32:33], 2.0, -v[4:5]
	v_fma_f64 v[24:25], v[34:35], 2.0, -v[8:9]
	v_mul_u32_u24_e32 v34, 3, v49
	v_mad_i32_i24 v1, 0xffffffe8, v48, v0
	v_lshl_add_u32 v35, v64, 5, 0
	s_delay_alu instid0(VALU_DEP_3) | instskip(NEXT) | instid1(VALU_DEP_3)
	v_lshlrev_b32_e32 v34, 4, v34
	v_add_nc_u32_e32 v65, 0xe00, v1
	v_add_nc_u32_e32 v66, 0x1c00, v1
	;; [unrolled: 1-line block ×3, first 2 shown]
	v_fma_f64 v[18:19], v[22:23], 2.0, -v[2:3]
	v_fma_f64 v[22:23], v[26:27], 2.0, -v[6:7]
	;; [unrolled: 1-line block ×6, first 2 shown]
	ds_store_b128 v0, v[18:21]
	ds_store_b128 v0, v[2:5] offset:16
	ds_store_b128 v35, v[22:25]
	ds_store_b128 v35, v[6:9] offset:16
	s_waitcnt lgkmcnt(0)
	s_barrier
	buffer_gl0_inv
	ds_load_2addr_b64 v[2:5], v1 offset1:224
	ds_load_2addr_b64 v[6:9], v65 offset1:224
	;; [unrolled: 1-line block ×4, first 2 shown]
	s_waitcnt lgkmcnt(0)
	s_barrier
	buffer_gl0_inv
	ds_store_b128 v0, v[26:29]
	ds_store_b128 v0, v[10:13] offset:16
	ds_store_b128 v35, v[30:33]
	ds_store_b128 v35, v[14:17] offset:16
	s_waitcnt lgkmcnt(0)
	s_barrier
	buffer_gl0_inv
	s_clause 0x2
	global_load_b128 v[10:13], v34, s[4:5]
	global_load_b128 v[14:17], v34, s[4:5] offset:16
	global_load_b128 v[26:29], v34, s[4:5] offset:32
	ds_load_2addr_b64 v[30:33], v65 offset1:224
	ds_load_2addr_b64 v[34:37], v66 offset1:224
	ds_load_2addr_b64 v[38:41], v67 offset1:224
	s_waitcnt vmcnt(2) lgkmcnt(2)
	v_mul_f64 v[42:43], v[30:31], v[12:13]
	s_waitcnt vmcnt(1) lgkmcnt(1)
	v_mul_f64 v[44:45], v[34:35], v[16:17]
	;; [unrolled: 2-line block ×3, first 2 shown]
	v_mul_f64 v[52:53], v[32:33], v[12:13]
	v_mul_f64 v[56:57], v[40:41], v[28:29]
	;; [unrolled: 1-line block ×9, first 2 shown]
	v_fma_f64 v[42:43], v[6:7], v[10:11], v[42:43]
	v_fma_f64 v[18:19], v[18:19], v[14:15], v[44:45]
	v_fma_f64 v[22:23], v[22:23], v[26:27], v[46:47]
	v_fma_f64 v[44:45], v[8:9], v[10:11], v[52:53]
	v_fma_f64 v[24:25], v[24:25], v[26:27], v[56:57]
	v_fma_f64 v[30:31], v[30:31], v[10:11], -v[58:59]
	v_fma_f64 v[34:35], v[34:35], v[14:15], -v[60:61]
	;; [unrolled: 1-line block ×3, first 2 shown]
	v_fma_f64 v[20:21], v[20:21], v[14:15], v[54:55]
	v_fma_f64 v[10:11], v[32:33], v[10:11], -v[12:13]
	v_fma_f64 v[12:13], v[36:37], v[14:15], -v[16:17]
	;; [unrolled: 1-line block ×3, first 2 shown]
	ds_load_2addr_b64 v[6:9], v1 offset1:224
	s_waitcnt lgkmcnt(0)
	s_barrier
	buffer_gl0_inv
	v_add_f64 v[16:17], v[2:3], -v[18:19]
	v_add_f64 v[18:19], v[42:43], -v[22:23]
	;; [unrolled: 1-line block ×8, first 2 shown]
	v_fma_f64 v[2:3], v[2:3], 2.0, -v[16:17]
	v_fma_f64 v[28:29], v[42:43], 2.0, -v[18:19]
	;; [unrolled: 1-line block ×6, first 2 shown]
	v_add_f64 v[26:27], v[16:17], v[26:27]
	v_fma_f64 v[8:9], v[8:9], 2.0, -v[12:13]
	v_fma_f64 v[10:11], v[10:11], 2.0, -v[14:15]
	v_add_f64 v[14:15], v[20:21], v[14:15]
	v_add_f64 v[18:19], v[24:25], -v[18:19]
	v_add_f64 v[22:23], v[12:13], -v[22:23]
	v_add_f64 v[28:29], v[2:3], -v[28:29]
	v_add_f64 v[30:31], v[6:7], -v[30:31]
	v_add_f64 v[32:33], v[4:5], -v[32:33]
	v_add_f64 v[34:35], v[8:9], -v[10:11]
	v_fma_f64 v[10:11], v[16:17], 2.0, -v[26:27]
	v_fma_f64 v[16:17], v[20:21], 2.0, -v[14:15]
	;; [unrolled: 1-line block ×7, first 2 shown]
	v_and_or_b32 v6, 0x3f0, v71, v49
	v_mul_u32_u24_e32 v7, 3, v68
	v_fma_f64 v[38:39], v[8:9], 2.0, -v[34:35]
	v_and_or_b32 v8, 0x7f0, v72, v49
	v_and_b32_e32 v49, 63, v48
	v_lshl_add_u32 v40, v6, 3, 0
	v_lshlrev_b32_e32 v41, 4, v7
	s_delay_alu instid0(VALU_DEP_4)
	v_lshl_add_u32 v42, v8, 3, 0
	ds_store_2addr_b64 v40, v[28:29], v[26:27] offset0:8 offset1:12
	ds_store_2addr_b64 v40, v[2:3], v[10:11] offset1:4
	ds_store_2addr_b64 v42, v[4:5], v[16:17] offset1:4
	ds_store_2addr_b64 v42, v[32:33], v[14:15] offset0:8 offset1:12
	s_waitcnt lgkmcnt(0)
	s_barrier
	buffer_gl0_inv
	ds_load_2addr_b64 v[2:5], v1 offset1:224
	ds_load_2addr_b64 v[6:9], v65 offset1:224
	;; [unrolled: 1-line block ×4, first 2 shown]
	s_waitcnt lgkmcnt(0)
	s_barrier
	buffer_gl0_inv
	ds_store_2addr_b64 v40, v[24:25], v[20:21] offset1:4
	ds_store_2addr_b64 v40, v[30:31], v[18:19] offset0:8 offset1:12
	ds_store_2addr_b64 v42, v[38:39], v[36:37] offset1:4
	ds_store_2addr_b64 v42, v[34:35], v[22:23] offset0:8 offset1:12
	s_waitcnt lgkmcnt(0)
	s_barrier
	buffer_gl0_inv
	s_clause 0x2
	global_load_b128 v[18:21], v41, s[4:5] offset:192
	global_load_b128 v[22:25], v41, s[4:5] offset:208
	;; [unrolled: 1-line block ×3, first 2 shown]
	ds_load_2addr_b64 v[30:33], v65 offset1:224
	ds_load_2addr_b64 v[34:37], v66 offset1:224
	;; [unrolled: 1-line block ×3, first 2 shown]
	s_waitcnt vmcnt(2)
	v_mul_f64 v[58:59], v[6:7], v[20:21]
	s_waitcnt vmcnt(1)
	v_mul_f64 v[60:61], v[10:11], v[24:25]
	;; [unrolled: 2-line block ×3, first 2 shown]
	s_waitcnt lgkmcnt(2)
	v_mul_f64 v[42:43], v[30:31], v[20:21]
	s_waitcnt lgkmcnt(1)
	v_mul_f64 v[44:45], v[34:35], v[24:25]
	;; [unrolled: 2-line block ×3, first 2 shown]
	v_mul_f64 v[52:53], v[32:33], v[20:21]
	v_mul_f64 v[54:55], v[36:37], v[24:25]
	;; [unrolled: 1-line block ×6, first 2 shown]
	v_fma_f64 v[30:31], v[30:31], v[18:19], -v[58:59]
	v_fma_f64 v[34:35], v[34:35], v[22:23], -v[60:61]
	;; [unrolled: 1-line block ×3, first 2 shown]
	v_fma_f64 v[42:43], v[6:7], v[18:19], v[42:43]
	v_fma_f64 v[10:11], v[10:11], v[22:23], v[44:45]
	;; [unrolled: 1-line block ×6, first 2 shown]
	v_fma_f64 v[18:19], v[32:33], v[18:19], -v[20:21]
	v_fma_f64 v[20:21], v[36:37], v[22:23], -v[24:25]
	;; [unrolled: 1-line block ×3, first 2 shown]
	ds_load_2addr_b64 v[6:9], v1 offset1:224
	s_waitcnt lgkmcnt(0)
	s_barrier
	buffer_gl0_inv
	v_add_f64 v[24:25], v[6:7], -v[34:35]
	v_add_f64 v[26:27], v[30:31], -v[38:39]
	;; [unrolled: 1-line block ×8, first 2 shown]
	v_fma_f64 v[6:7], v[6:7], 2.0, -v[24:25]
	v_fma_f64 v[30:31], v[30:31], 2.0, -v[26:27]
	;; [unrolled: 1-line block ×4, first 2 shown]
	v_add_f64 v[34:35], v[24:25], -v[14:15]
	v_fma_f64 v[4:5], v[4:5], 2.0, -v[12:13]
	v_fma_f64 v[32:33], v[44:45], 2.0, -v[16:17]
	v_add_f64 v[26:27], v[10:11], v[26:27]
	v_fma_f64 v[8:9], v[8:9], 2.0, -v[20:21]
	v_fma_f64 v[18:19], v[18:19], 2.0, -v[22:23]
	v_add_f64 v[22:23], v[12:13], v[22:23]
	v_add_f64 v[16:17], v[20:21], -v[16:17]
	v_add_f64 v[30:31], v[6:7], -v[30:31]
	;; [unrolled: 1-line block ×3, first 2 shown]
	v_fma_f64 v[36:37], v[24:25], 2.0, -v[34:35]
	v_add_f64 v[32:33], v[4:5], -v[32:33]
	v_fma_f64 v[10:11], v[10:11], 2.0, -v[26:27]
	v_add_f64 v[18:19], v[8:9], -v[18:19]
	v_fma_f64 v[12:13], v[12:13], 2.0, -v[22:23]
	v_fma_f64 v[20:21], v[20:21], 2.0, -v[16:17]
	;; [unrolled: 1-line block ×3, first 2 shown]
	v_and_or_b32 v6, 0x3c0, v71, v68
	v_mul_u32_u24_e32 v7, 3, v49
	v_fma_f64 v[2:3], v[2:3], 2.0, -v[28:29]
	v_fma_f64 v[4:5], v[4:5], 2.0, -v[32:33]
	s_delay_alu instid0(VALU_DEP_4) | instskip(NEXT) | instid1(VALU_DEP_4)
	v_lshl_add_u32 v42, v6, 3, 0
	v_lshlrev_b32_e32 v43, 4, v7
	v_fma_f64 v[40:41], v[8:9], 2.0, -v[18:19]
	v_and_or_b32 v8, 0x7c0, v72, v68
	v_mul_u32_u24_e32 v9, 3, v73
	s_delay_alu instid0(VALU_DEP_2) | instskip(NEXT) | instid1(VALU_DEP_2)
	v_lshl_add_u32 v44, v8, 3, 0
	v_lshlrev_b32_e32 v45, 4, v9
	ds_store_2addr_b64 v42, v[28:29], v[26:27] offset0:32 offset1:48
	ds_store_2addr_b64 v42, v[2:3], v[10:11] offset1:16
	ds_store_2addr_b64 v44, v[4:5], v[12:13] offset1:16
	ds_store_2addr_b64 v44, v[32:33], v[22:23] offset0:32 offset1:48
	s_waitcnt lgkmcnt(0)
	s_barrier
	buffer_gl0_inv
	ds_load_2addr_b64 v[2:5], v1 offset1:224
	ds_load_2addr_b64 v[6:9], v65 offset1:224
	;; [unrolled: 1-line block ×4, first 2 shown]
	s_waitcnt lgkmcnt(0)
	s_barrier
	buffer_gl0_inv
	ds_store_2addr_b64 v42, v[38:39], v[36:37] offset1:16
	ds_store_2addr_b64 v42, v[30:31], v[34:35] offset0:32 offset1:48
	ds_store_2addr_b64 v44, v[40:41], v[20:21] offset1:16
	ds_store_2addr_b64 v44, v[18:19], v[16:17] offset0:32 offset1:48
	s_waitcnt lgkmcnt(0)
	s_barrier
	buffer_gl0_inv
	s_clause 0x5
	global_load_b128 v[32:35], v43, s[4:5] offset:960
	global_load_b128 v[16:19], v43, s[4:5] offset:976
	;; [unrolled: 1-line block ×6, first 2 shown]
	ds_load_2addr_b64 v[56:59], v65 offset1:224
	ds_load_2addr_b64 v[28:31], v66 offset1:224
	;; [unrolled: 1-line block ×3, first 2 shown]
	s_waitcnt vmcnt(5) lgkmcnt(2)
	v_mul_f64 v[10:11], v[56:57], v[34:35]
	s_waitcnt vmcnt(4) lgkmcnt(1)
	v_mul_f64 v[44:45], v[28:29], v[18:19]
	;; [unrolled: 2-line block ×3, first 2 shown]
	s_waitcnt vmcnt(2)
	v_mul_f64 v[65:66], v[58:59], v[42:43]
	s_waitcnt vmcnt(1)
	v_mul_f64 v[67:68], v[30:31], v[22:23]
	;; [unrolled: 2-line block ×3, first 2 shown]
	v_mul_f64 v[34:35], v[6:7], v[34:35]
	v_mul_f64 v[38:39], v[24:25], v[38:39]
	;; [unrolled: 1-line block ×4, first 2 shown]
	v_fma_f64 v[6:7], v[6:7], v[32:33], v[10:11]
	v_fma_f64 v[10:11], v[12:13], v[16:17], v[44:45]
	;; [unrolled: 1-line block ×6, first 2 shown]
	v_fma_f64 v[46:47], v[56:57], v[32:33], -v[34:35]
	v_fma_f64 v[32:33], v[60:61], v[36:37], -v[38:39]
	;; [unrolled: 1-line block ×4, first 2 shown]
	ds_load_2addr_b64 v[40:43], v1 offset1:224
	s_waitcnt lgkmcnt(0)
	s_barrier
	buffer_gl0_inv
	v_add_f64 v[10:11], v[2:3], -v[10:11]
	v_add_f64 v[54:55], v[6:7], -v[24:25]
	;; [unrolled: 1-line block ×4, first 2 shown]
	v_lshl_add_u32 v65, v48, 3, 0
	v_add_f64 v[62:63], v[46:47], -v[32:33]
	v_and_or_b32 v32, 0x300, v71, v49
	v_add_f64 v[60:61], v[44:45], -v[34:35]
	v_and_or_b32 v33, 0x700, v72, v73
	s_delay_alu instid0(VALU_DEP_3) | instskip(NEXT) | instid1(VALU_DEP_2)
	v_lshl_add_u32 v67, v32, 3, 0
	v_lshl_add_u32 v66, v33, 3, 0
	v_fma_f64 v[2:3], v[2:3], 2.0, -v[10:11]
	v_fma_f64 v[6:7], v[6:7], 2.0, -v[54:55]
	;; [unrolled: 1-line block ×4, first 2 shown]
	v_add_f64 v[26:27], v[10:11], v[62:63]
	v_add_f64 v[52:53], v[24:25], v[60:61]
	v_add_f64 v[6:7], v[2:3], -v[6:7]
	s_delay_alu instid0(VALU_DEP_4) | instskip(NEXT) | instid1(VALU_DEP_4)
	v_add_f64 v[8:9], v[4:5], -v[8:9]
	v_fma_f64 v[10:11], v[10:11], 2.0, -v[26:27]
	s_delay_alu instid0(VALU_DEP_4) | instskip(NEXT) | instid1(VALU_DEP_4)
	v_fma_f64 v[24:25], v[24:25], 2.0, -v[52:53]
	v_fma_f64 v[2:3], v[2:3], 2.0, -v[6:7]
	s_delay_alu instid0(VALU_DEP_4)
	v_fma_f64 v[4:5], v[4:5], 2.0, -v[8:9]
	ds_store_2addr_stride64_b64 v67, v[2:3], v[10:11] offset1:1
	ds_store_2addr_stride64_b64 v67, v[6:7], v[26:27] offset0:2 offset1:3
	ds_store_2addr_stride64_b64 v66, v[4:5], v[24:25] offset1:1
	ds_store_2addr_stride64_b64 v66, v[8:9], v[52:53] offset0:2 offset1:3
	s_waitcnt lgkmcnt(0)
	s_barrier
	buffer_gl0_inv
	ds_load_2addr_stride64_b64 v[24:27], v1 offset1:4
	ds_load_2addr_stride64_b64 v[32:35], v1 offset0:8 offset1:12
	ds_load_2addr_stride64_b64 v[36:39], v1 offset0:16 offset1:20
	ds_load_b64 v[56:57], v1 offset:12288
	v_mul_i32_i24_e32 v1, 0xffffffe8, v48
                                        ; implicit-def: $vgpr6_vgpr7
                                        ; implicit-def: $vgpr2_vgpr3
                                        ; implicit-def: $vgpr10_vgpr11
	s_delay_alu instid0(VALU_DEP_1)
	v_add_nc_u32_e32 v49, v0, v1
	s_and_saveexec_b32 s1, s0
	s_cbranch_execz .LBB0_13
; %bb.12:
	v_add_nc_u32_e32 v4, 0x100, v65
	ds_load_b64 v[52:53], v49 offset:1792
	ds_load_2addr_stride64_b64 v[8:11], v4 offset0:7 offset1:11
	ds_load_2addr_stride64_b64 v[0:3], v4 offset0:15 offset1:19
	;; [unrolled: 1-line block ×3, first 2 shown]
.LBB0_13:
	s_or_b32 exec_lo, exec_lo, s1
	v_mul_f64 v[12:13], v[12:13], v[18:19]
	v_mul_f64 v[14:15], v[14:15], v[22:23]
	s_waitcnt lgkmcnt(0)
	s_barrier
	buffer_gl0_inv
	v_fma_f64 v[12:13], v[28:29], v[16:17], -v[12:13]
	v_fma_f64 v[14:15], v[30:31], v[20:21], -v[14:15]
	v_fma_f64 v[16:17], v[46:47], 2.0, -v[62:63]
	v_fma_f64 v[20:21], v[44:45], 2.0, -v[60:61]
	s_delay_alu instid0(VALU_DEP_4) | instskip(NEXT) | instid1(VALU_DEP_4)
	v_add_f64 v[12:13], v[40:41], -v[12:13]
	v_add_f64 v[14:15], v[42:43], -v[14:15]
	s_delay_alu instid0(VALU_DEP_2) | instskip(NEXT) | instid1(VALU_DEP_2)
	v_fma_f64 v[18:19], v[40:41], 2.0, -v[12:13]
	v_fma_f64 v[22:23], v[42:43], 2.0, -v[14:15]
	v_add_f64 v[28:29], v[12:13], -v[54:55]
	v_add_f64 v[54:55], v[14:15], -v[58:59]
	s_delay_alu instid0(VALU_DEP_4) | instskip(NEXT) | instid1(VALU_DEP_4)
	v_add_f64 v[16:17], v[18:19], -v[16:17]
	v_add_f64 v[20:21], v[22:23], -v[20:21]
	s_delay_alu instid0(VALU_DEP_4) | instskip(NEXT) | instid1(VALU_DEP_4)
	v_fma_f64 v[12:13], v[12:13], 2.0, -v[28:29]
	v_fma_f64 v[14:15], v[14:15], 2.0, -v[54:55]
	s_delay_alu instid0(VALU_DEP_4) | instskip(NEXT) | instid1(VALU_DEP_4)
	v_fma_f64 v[18:19], v[18:19], 2.0, -v[16:17]
	v_fma_f64 v[22:23], v[22:23], 2.0, -v[20:21]
	ds_store_2addr_stride64_b64 v67, v[18:19], v[12:13] offset1:1
	ds_store_2addr_stride64_b64 v67, v[16:17], v[28:29] offset0:2 offset1:3
	ds_store_2addr_stride64_b64 v66, v[22:23], v[14:15] offset1:1
	ds_store_2addr_stride64_b64 v66, v[20:21], v[54:55] offset0:2 offset1:3
	s_waitcnt lgkmcnt(0)
	s_barrier
	buffer_gl0_inv
	ds_load_2addr_stride64_b64 v[28:31], v49 offset1:4
	ds_load_2addr_stride64_b64 v[40:43], v49 offset0:8 offset1:12
	ds_load_2addr_stride64_b64 v[44:47], v49 offset0:16 offset1:20
	ds_load_b64 v[58:59], v49 offset:12288
                                        ; implicit-def: $vgpr18_vgpr19
                                        ; implicit-def: $vgpr14_vgpr15
                                        ; implicit-def: $vgpr22_vgpr23
	s_and_saveexec_b32 s1, s0
	s_cbranch_execz .LBB0_15
; %bb.14:
	v_add_nc_u32_e32 v16, 0x100, v65
	ds_load_b64 v[54:55], v49 offset:1792
	ds_load_2addr_stride64_b64 v[20:23], v16 offset0:7 offset1:11
	ds_load_2addr_stride64_b64 v[12:15], v16 offset0:15 offset1:19
	;; [unrolled: 1-line block ×3, first 2 shown]
.LBB0_15:
	s_or_b32 exec_lo, exec_lo, s1
	s_and_saveexec_b32 s1, vcc_lo
	s_cbranch_execz .LBB0_18
; %bb.16:
	v_mul_u32_u24_e32 v49, 6, v48
	s_mov_b32 s18, 0xe976ee23
	s_mov_b32 s6, 0x36b3c0b5
	;; [unrolled: 1-line block ×4, first 2 shown]
	v_lshlrev_b32_e32 v49, 4, v49
	s_mov_b32 s19, 0x3fe11646
	s_mov_b32 s7, 0x3fac98ee
	s_mov_b32 s23, 0x3fe948f6
	s_mov_b32 s3, 0xbfebfeb5
	v_add_co_u32 v60, s1, s4, v49
	s_delay_alu instid0(VALU_DEP_1) | instskip(SKIP_1) | instid1(VALU_DEP_2)
	v_add_co_ci_u32_e64 v61, null, s5, 0, s1
	s_mov_b32 s20, 0xb247c609
	v_add_co_u32 v73, vcc_lo, 0x1000, v60
	s_delay_alu instid0(VALU_DEP_2)
	v_add_co_ci_u32_e32 v74, vcc_lo, 0, v61, vcc_lo
	s_mov_b32 s10, 0xaaaaaaaa
	s_clause 0x5
	global_load_b128 v[60:63], v49, s[4:5] offset:4048
	global_load_b128 v[65:68], v49, s[4:5] offset:4032
	global_load_b128 v[69:72], v[73:74], off
	global_load_b128 v[73:76], v[73:74], off offset:16
	global_load_b128 v[77:80], v49, s[4:5] offset:4080
	global_load_b128 v[81:84], v49, s[4:5] offset:4064
	s_mov_b32 s12, 0x5476071b
	s_mov_b32 s21, 0xbfd5d0dc
	;; [unrolled: 1-line block ×10, first 2 shown]
	v_mov_b32_e32 v49, 0
	s_waitcnt vmcnt(5)
	v_mul_f64 v[85:86], v[32:33], v[62:63]
	s_waitcnt vmcnt(4)
	v_mul_f64 v[87:88], v[26:27], v[67:68]
	;; [unrolled: 2-line block ×4, first 2 shown]
	v_mul_f64 v[32:33], v[32:33], v[60:61]
	v_mul_f64 v[26:27], v[26:27], v[65:66]
	;; [unrolled: 1-line block ×4, first 2 shown]
	s_waitcnt vmcnt(1)
	v_mul_f64 v[93:94], v[36:37], v[77:78]
	s_waitcnt vmcnt(0)
	v_mul_f64 v[95:96], v[34:35], v[81:82]
	v_mul_f64 v[34:35], v[34:35], v[83:84]
	;; [unrolled: 1-line block ×3, first 2 shown]
	s_waitcnt lgkmcnt(2)
	v_fma_f64 v[60:61], v[40:41], v[60:61], -v[85:86]
	v_fma_f64 v[65:66], v[30:31], v[65:66], -v[87:88]
	s_waitcnt lgkmcnt(1)
	v_fma_f64 v[69:70], v[46:47], v[69:70], -v[89:90]
	s_waitcnt lgkmcnt(0)
	v_fma_f64 v[73:74], v[58:59], v[73:74], -v[91:92]
	v_fma_f64 v[32:33], v[40:41], v[62:63], v[32:33]
	v_fma_f64 v[26:27], v[30:31], v[67:68], v[26:27]
	;; [unrolled: 1-line block ×6, first 2 shown]
	v_fma_f64 v[34:35], v[42:43], v[81:82], -v[34:35]
	v_fma_f64 v[36:37], v[44:45], v[77:78], -v[36:37]
	v_add_f64 v[42:43], v[60:61], v[69:70]
	v_add_f64 v[44:45], v[65:66], v[73:74]
	v_add_f64 v[56:57], v[32:33], v[30:31]
	v_add_f64 v[58:59], v[26:27], v[38:39]
	v_add_f64 v[30:31], v[32:33], -v[30:31]
	v_add_f64 v[62:63], v[40:41], -v[46:47]
	v_add_f64 v[40:41], v[40:41], v[46:47]
	v_add_f64 v[32:33], v[36:37], v[34:35]
	v_add_f64 v[26:27], v[26:27], -v[38:39]
	v_add_f64 v[34:35], v[36:37], -v[34:35]
	;; [unrolled: 1-line block ×4, first 2 shown]
	v_add_f64 v[38:39], v[42:43], v[44:45]
	v_add_f64 v[60:61], v[56:57], v[58:59]
	v_add_f64 v[65:66], v[62:63], -v[30:31]
	v_add_f64 v[69:70], v[58:59], -v[40:41]
	;; [unrolled: 1-line block ×4, first 2 shown]
	v_add_f64 v[77:78], v[62:63], v[30:31]
	v_add_f64 v[73:74], v[34:35], -v[36:37]
	v_add_f64 v[75:76], v[36:37], -v[46:47]
	;; [unrolled: 1-line block ×3, first 2 shown]
	v_add_f64 v[36:37], v[34:35], v[36:37]
	v_add_f64 v[34:35], v[46:47], -v[34:35]
	v_add_f64 v[38:39], v[32:33], v[38:39]
	v_add_f64 v[32:33], v[32:33], -v[42:43]
	v_add_f64 v[42:43], v[42:43], -v[44:45]
	v_add_f64 v[60:61], v[40:41], v[60:61]
	v_add_f64 v[40:41], v[40:41], -v[56:57]
	v_mul_f64 v[65:66], v[65:66], s[18:19]
	v_mul_f64 v[69:70], v[69:70], s[22:23]
	v_mul_f64 v[67:68], v[67:68], s[22:23]
	v_mul_f64 v[79:80], v[71:72], s[2:3]
	v_add_f64 v[26:27], v[77:78], v[26:27]
	v_mul_f64 v[73:74], v[73:74], s[18:19]
	v_mul_f64 v[81:82], v[75:76], s[2:3]
	v_or_b32_e32 v77, 0x600, v48
	v_add_f64 v[36:37], v[36:37], v[46:47]
	v_mov_b32_e32 v78, v49
	v_add_f64 v[30:31], v[28:29], v[38:39]
	v_mul_f64 v[44:45], v[32:33], s[6:7]
	v_add_f64 v[28:29], v[24:25], v[60:61]
	v_add_f64 v[24:25], v[56:57], -v[58:59]
	v_mul_f64 v[56:57], v[40:41], s[6:7]
	v_fma_f64 v[46:47], v[62:63], s[20:21], v[65:66]
	v_fma_f64 v[32:33], v[32:33], s[6:7], v[67:68]
	;; [unrolled: 1-line block ×3, first 2 shown]
	v_fma_f64 v[58:59], v[62:63], s[14:15], -v[79:80]
	v_fma_f64 v[62:63], v[71:72], s[2:3], -v[65:66]
	;; [unrolled: 1-line block ×4, first 2 shown]
	v_lshlrev_b64 v[79:80], 4, v[48:49]
	v_or_b32_e32 v75, 0x500, v48
	v_mov_b32_e32 v76, v49
	v_fma_f64 v[38:39], v[38:39], s[10:11], v[30:31]
	v_fma_f64 v[42:43], v[42:43], s[16:17], -v[44:45]
	v_fma_f64 v[44:45], v[34:35], s[20:21], v[73:74]
	v_fma_f64 v[34:35], v[34:35], s[14:15], -v[81:82]
	;; [unrolled: 2-line block ×3, first 2 shown]
	v_fma_f64 v[24:25], v[24:25], s[16:17], -v[56:57]
	v_fma_f64 v[56:57], v[26:27], s[24:25], v[46:47]
	v_fma_f64 v[58:59], v[26:27], s[24:25], v[58:59]
	;; [unrolled: 1-line block ×3, first 2 shown]
	v_add_co_u32 v26, vcc_lo, s8, v50
	v_add_co_ci_u32_e32 v27, vcc_lo, s9, v51, vcc_lo
	v_or_b32_e32 v50, 0x400, v48
	v_mov_b32_e32 v51, v49
	s_delay_alu instid0(VALU_DEP_1)
	v_lshlrev_b64 v[50:51], 4, v[50:51]
	v_add_f64 v[32:33], v[32:33], v[38:39]
	v_add_f64 v[62:63], v[65:66], v[38:39]
	v_fma_f64 v[71:72], v[36:37], s[24:25], v[44:45]
	v_fma_f64 v[73:74], v[36:37], s[24:25], v[34:35]
	v_fma_f64 v[36:37], v[36:37], s[24:25], v[67:68]
	v_add_f64 v[67:68], v[40:41], v[60:61]
	v_add_f64 v[69:70], v[69:70], v[60:61]
	;; [unrolled: 1-line block ×4, first 2 shown]
	v_or_b32_e32 v38, 0x200, v48
	v_mov_b32_e32 v39, v49
	v_or_b32_e32 v34, 0x100, v48
	v_mov_b32_e32 v35, v49
	;; [unrolled: 2-line block ×3, first 2 shown]
	v_lshlrev_b64 v[83:84], 4, v[38:39]
	s_delay_alu instid0(VALU_DEP_4) | instskip(NEXT) | instid1(VALU_DEP_3)
	v_lshlrev_b64 v[81:82], 4, v[34:35]
	v_lshlrev_b64 v[85:86], 4, v[40:41]
	v_add_f64 v[34:35], v[56:57], v[32:33]
	v_add_f64 v[38:39], v[58:59], v[62:63]
	v_add_f64 v[58:59], v[62:63], -v[58:59]
	v_add_f64 v[62:63], v[32:33], -v[56:57]
	v_add_f64 v[60:61], v[71:72], v[67:68]
	v_add_f64 v[56:57], v[73:74], v[69:70]
	v_add_f64 v[42:43], v[65:66], -v[46:47]
	v_add_f64 v[46:47], v[46:47], v[65:66]
	v_add_f64 v[44:45], v[24:25], -v[36:37]
	;; [unrolled: 2-line block ×3, first 2 shown]
	v_add_f64 v[32:33], v[67:68], -v[71:72]
	v_add_co_u32 v24, vcc_lo, v26, v79
	v_add_co_ci_u32_e32 v25, vcc_lo, v27, v80, vcc_lo
	v_add_co_u32 v69, vcc_lo, v26, v81
	v_add_co_ci_u32_e32 v70, vcc_lo, v27, v82, vcc_lo
	;; [unrolled: 2-line block ×3, first 2 shown]
	v_lshlrev_b64 v[65:66], 4, v[75:76]
	v_add_co_u32 v73, vcc_lo, v26, v85
	v_add_co_ci_u32_e32 v74, vcc_lo, v27, v86, vcc_lo
	v_lshlrev_b64 v[67:68], 4, v[77:78]
	v_add_co_u32 v50, vcc_lo, v26, v50
	v_add_co_ci_u32_e32 v51, vcc_lo, v27, v51, vcc_lo
	v_add_co_u32 v65, vcc_lo, v26, v65
	v_add_co_ci_u32_e32 v66, vcc_lo, v27, v66, vcc_lo
	v_add_co_u32 v67, vcc_lo, v26, v67
	v_add_co_ci_u32_e32 v68, vcc_lo, v27, v68, vcc_lo
	s_clause 0x6
	global_store_b128 v[24:25], v[28:31], off
	global_store_b128 v[69:70], v[60:63], off
	;; [unrolled: 1-line block ×7, first 2 shown]
	s_and_b32 exec_lo, exec_lo, s0
	s_cbranch_execz .LBB0_18
; %bb.17:
	v_and_b32_e32 v28, 0xff, v64
	s_delay_alu instid0(VALU_DEP_1) | instskip(NEXT) | instid1(VALU_DEP_1)
	v_mul_u32_u24_e32 v28, 6, v28
	v_lshlrev_b32_e32 v50, 4, v28
	s_delay_alu instid0(VALU_DEP_1) | instskip(NEXT) | instid1(VALU_DEP_1)
	v_add_co_u32 v28, s0, s4, v50
	v_add_co_ci_u32_e64 v29, null, s5, 0, s0
	s_delay_alu instid0(VALU_DEP_2) | instskip(NEXT) | instid1(VALU_DEP_2)
	v_add_co_u32 v40, vcc_lo, 0x1000, v28
	v_add_co_ci_u32_e32 v41, vcc_lo, 0, v29, vcc_lo
	s_clause 0x5
	global_load_b128 v[28:31], v50, s[4:5] offset:4032
	global_load_b128 v[32:35], v50, s[4:5] offset:4048
	global_load_b128 v[36:39], v[40:41], off offset:16
	global_load_b128 v[40:43], v[40:41], off
	global_load_b128 v[44:47], v50, s[4:5] offset:4064
	global_load_b128 v[56:59], v50, s[4:5] offset:4080
	s_waitcnt vmcnt(5)
	v_mul_f64 v[50:51], v[20:21], v[30:31]
	v_mul_f64 v[30:31], v[8:9], v[30:31]
	s_waitcnt vmcnt(4)
	v_mul_f64 v[60:61], v[22:23], v[34:35]
	v_mul_f64 v[34:35], v[10:11], v[34:35]
	;; [unrolled: 3-line block ×6, first 2 shown]
	v_fma_f64 v[8:9], v[8:9], v[28:29], v[50:51]
	v_fma_f64 v[20:21], v[20:21], v[28:29], -v[30:31]
	v_fma_f64 v[10:11], v[10:11], v[32:33], v[60:61]
	v_fma_f64 v[22:23], v[22:23], v[32:33], -v[34:35]
	;; [unrolled: 2-line block ×6, first 2 shown]
	v_or_b32_e32 v58, 0x5e0, v48
	v_mov_b32_e32 v59, v49
	v_add_f64 v[28:29], v[8:9], v[6:7]
	v_add_f64 v[30:31], v[20:21], v[18:19]
	;; [unrolled: 1-line block ×4, first 2 shown]
	v_add_f64 v[4:5], v[10:11], -v[4:5]
	v_add_f64 v[10:11], v[22:23], -v[16:17]
	v_add_f64 v[36:37], v[0:1], v[2:3]
	v_add_f64 v[38:39], v[12:13], v[14:15]
	v_add_f64 v[0:1], v[2:3], -v[0:1]
	v_add_f64 v[2:3], v[14:15], -v[12:13]
	v_add_f64 v[6:7], v[8:9], -v[6:7]
	v_add_f64 v[8:9], v[20:21], -v[18:19]
	v_add_f64 v[12:13], v[32:33], v[28:29]
	v_add_f64 v[14:15], v[34:35], v[30:31]
	v_add_f64 v[16:17], v[28:29], -v[36:37]
	v_add_f64 v[18:19], v[30:31], -v[38:39]
	;; [unrolled: 1-line block ×6, first 2 shown]
	v_add_f64 v[4:5], v[0:1], v[4:5]
	v_add_f64 v[10:11], v[2:3], v[10:11]
	v_add_f64 v[44:45], v[6:7], -v[0:1]
	v_add_f64 v[46:47], v[8:9], -v[2:3]
	v_add_f64 v[28:29], v[32:33], -v[28:29]
	v_add_f64 v[30:31], v[34:35], -v[30:31]
	v_add_f64 v[12:13], v[36:37], v[12:13]
	v_add_f64 v[14:15], v[38:39], v[14:15]
	v_add_f64 v[36:37], v[36:37], -v[32:33]
	v_add_f64 v[38:39], v[38:39], -v[34:35]
	v_mul_f64 v[16:17], v[16:17], s[22:23]
	v_mul_f64 v[18:19], v[18:19], s[22:23]
	;; [unrolled: 1-line block ×6, first 2 shown]
	v_add_f64 v[4:5], v[4:5], v[6:7]
	v_add_f64 v[6:7], v[10:11], v[8:9]
	;; [unrolled: 1-line block ×3, first 2 shown]
	v_mov_b32_e32 v53, v49
	v_add_f64 v[2:3], v[54:55], v[14:15]
	v_mul_f64 v[32:33], v[36:37], s[6:7]
	v_mul_f64 v[34:35], v[38:39], s[6:7]
	v_fma_f64 v[8:9], v[36:37], s[6:7], v[16:17]
	v_fma_f64 v[10:11], v[38:39], s[6:7], v[18:19]
	v_fma_f64 v[36:37], v[44:45], s[20:21], v[20:21]
	v_fma_f64 v[38:39], v[46:47], s[20:21], v[22:23]
	v_fma_f64 v[20:21], v[40:41], s[2:3], -v[20:21]
	v_fma_f64 v[22:23], v[42:43], s[2:3], -v[22:23]
	;; [unrolled: 1-line block ×6, first 2 shown]
	v_or_b32_e32 v50, 0x1e0, v48
	v_mov_b32_e32 v51, v49
	v_or_b32_e32 v52, 0x2e0, v48
	v_or_b32_e32 v54, 0x3e0, v48
	v_mov_b32_e32 v55, v49
	v_or_b32_e32 v56, 0x4e0, v48
	v_mov_b32_e32 v57, v49
	v_or_b32_e32 v48, 0x6e0, v48
	v_fma_f64 v[12:13], v[12:13], s[10:11], v[0:1]
	v_fma_f64 v[14:15], v[14:15], s[10:11], v[2:3]
	v_fma_f64 v[28:29], v[28:29], s[16:17], -v[32:33]
	v_fma_f64 v[30:31], v[30:31], s[16:17], -v[34:35]
	v_fma_f64 v[32:33], v[4:5], s[24:25], v[36:37]
	v_fma_f64 v[34:35], v[6:7], s[24:25], v[38:39]
	;; [unrolled: 1-line block ×6, first 2 shown]
	v_add_f64 v[40:41], v[8:9], v[12:13]
	v_add_f64 v[44:45], v[16:17], v[12:13]
	;; [unrolled: 1-line block ×8, first 2 shown]
	v_add_f64 v[6:7], v[42:43], -v[32:33]
	v_add_f64 v[10:11], v[46:47], -v[36:37]
	;; [unrolled: 1-line block ×3, first 2 shown]
	v_add_f64 v[14:15], v[20:21], v[18:19]
	v_add_f64 v[16:17], v[22:23], v[16:17]
	v_add_f64 v[18:19], v[18:19], -v[20:21]
	v_add_f64 v[20:21], v[44:45], -v[38:39]
	v_add_f64 v[22:23], v[36:37], v[46:47]
	v_add_f64 v[28:29], v[40:41], -v[34:35]
	v_add_f64 v[30:31], v[32:33], v[42:43]
	v_lshlrev_b64 v[32:33], 4, v[50:51]
	v_lshlrev_b64 v[34:35], 4, v[52:53]
	;; [unrolled: 1-line block ×6, first 2 shown]
	v_add_co_u32 v32, vcc_lo, v26, v32
	v_add_co_ci_u32_e32 v33, vcc_lo, v27, v33, vcc_lo
	v_add_co_u32 v34, vcc_lo, v26, v34
	v_add_co_ci_u32_e32 v35, vcc_lo, v27, v35, vcc_lo
	;; [unrolled: 2-line block ×6, first 2 shown]
	s_clause 0x6
	global_store_b128 v[24:25], v[0:3], off offset:3584
	global_store_b128 v[32:33], v[4:7], off
	global_store_b128 v[34:35], v[8:11], off
	;; [unrolled: 1-line block ×6, first 2 shown]
.LBB0_18:
	s_nop 0
	s_sendmsg sendmsg(MSG_DEALLOC_VGPRS)
	s_endpgm
	.section	.rodata,"a",@progbits
	.p2align	6, 0x0
	.amdhsa_kernel fft_rtc_back_len1792_factors_4_4_4_4_7_wgs_224_tpt_224_halfLds_dp_ip_CI_unitstride_sbrr_dirReg
		.amdhsa_group_segment_fixed_size 0
		.amdhsa_private_segment_fixed_size 0
		.amdhsa_kernarg_size 88
		.amdhsa_user_sgpr_count 15
		.amdhsa_user_sgpr_dispatch_ptr 0
		.amdhsa_user_sgpr_queue_ptr 0
		.amdhsa_user_sgpr_kernarg_segment_ptr 1
		.amdhsa_user_sgpr_dispatch_id 0
		.amdhsa_user_sgpr_private_segment_size 0
		.amdhsa_wavefront_size32 1
		.amdhsa_uses_dynamic_stack 0
		.amdhsa_enable_private_segment 0
		.amdhsa_system_sgpr_workgroup_id_x 1
		.amdhsa_system_sgpr_workgroup_id_y 0
		.amdhsa_system_sgpr_workgroup_id_z 0
		.amdhsa_system_sgpr_workgroup_info 0
		.amdhsa_system_vgpr_workitem_id 0
		.amdhsa_next_free_vgpr 97
		.amdhsa_next_free_sgpr 26
		.amdhsa_reserve_vcc 1
		.amdhsa_float_round_mode_32 0
		.amdhsa_float_round_mode_16_64 0
		.amdhsa_float_denorm_mode_32 3
		.amdhsa_float_denorm_mode_16_64 3
		.amdhsa_dx10_clamp 1
		.amdhsa_ieee_mode 1
		.amdhsa_fp16_overflow 0
		.amdhsa_workgroup_processor_mode 1
		.amdhsa_memory_ordered 1
		.amdhsa_forward_progress 0
		.amdhsa_shared_vgpr_count 0
		.amdhsa_exception_fp_ieee_invalid_op 0
		.amdhsa_exception_fp_denorm_src 0
		.amdhsa_exception_fp_ieee_div_zero 0
		.amdhsa_exception_fp_ieee_overflow 0
		.amdhsa_exception_fp_ieee_underflow 0
		.amdhsa_exception_fp_ieee_inexact 0
		.amdhsa_exception_int_div_zero 0
	.end_amdhsa_kernel
	.text
.Lfunc_end0:
	.size	fft_rtc_back_len1792_factors_4_4_4_4_7_wgs_224_tpt_224_halfLds_dp_ip_CI_unitstride_sbrr_dirReg, .Lfunc_end0-fft_rtc_back_len1792_factors_4_4_4_4_7_wgs_224_tpt_224_halfLds_dp_ip_CI_unitstride_sbrr_dirReg
                                        ; -- End function
	.section	.AMDGPU.csdata,"",@progbits
; Kernel info:
; codeLenInByte = 7224
; NumSgprs: 28
; NumVgprs: 97
; ScratchSize: 0
; MemoryBound: 1
; FloatMode: 240
; IeeeMode: 1
; LDSByteSize: 0 bytes/workgroup (compile time only)
; SGPRBlocks: 3
; VGPRBlocks: 12
; NumSGPRsForWavesPerEU: 28
; NumVGPRsForWavesPerEU: 97
; Occupancy: 12
; WaveLimiterHint : 1
; COMPUTE_PGM_RSRC2:SCRATCH_EN: 0
; COMPUTE_PGM_RSRC2:USER_SGPR: 15
; COMPUTE_PGM_RSRC2:TRAP_HANDLER: 0
; COMPUTE_PGM_RSRC2:TGID_X_EN: 1
; COMPUTE_PGM_RSRC2:TGID_Y_EN: 0
; COMPUTE_PGM_RSRC2:TGID_Z_EN: 0
; COMPUTE_PGM_RSRC2:TIDIG_COMP_CNT: 0
	.text
	.p2alignl 7, 3214868480
	.fill 96, 4, 3214868480
	.type	__hip_cuid_a03156286fafc85,@object ; @__hip_cuid_a03156286fafc85
	.section	.bss,"aw",@nobits
	.globl	__hip_cuid_a03156286fafc85
__hip_cuid_a03156286fafc85:
	.byte	0                               ; 0x0
	.size	__hip_cuid_a03156286fafc85, 1

	.ident	"AMD clang version 19.0.0git (https://github.com/RadeonOpenCompute/llvm-project roc-6.4.0 25133 c7fe45cf4b819c5991fe208aaa96edf142730f1d)"
	.section	".note.GNU-stack","",@progbits
	.addrsig
	.addrsig_sym __hip_cuid_a03156286fafc85
	.amdgpu_metadata
---
amdhsa.kernels:
  - .args:
      - .actual_access:  read_only
        .address_space:  global
        .offset:         0
        .size:           8
        .value_kind:     global_buffer
      - .offset:         8
        .size:           8
        .value_kind:     by_value
      - .actual_access:  read_only
        .address_space:  global
        .offset:         16
        .size:           8
        .value_kind:     global_buffer
      - .actual_access:  read_only
        .address_space:  global
        .offset:         24
        .size:           8
        .value_kind:     global_buffer
      - .offset:         32
        .size:           8
        .value_kind:     by_value
      - .actual_access:  read_only
        .address_space:  global
        .offset:         40
        .size:           8
        .value_kind:     global_buffer
      - .actual_access:  read_only
        .address_space:  global
        .offset:         48
        .size:           8
        .value_kind:     global_buffer
      - .offset:         56
        .size:           4
        .value_kind:     by_value
      - .actual_access:  read_only
        .address_space:  global
        .offset:         64
        .size:           8
        .value_kind:     global_buffer
      - .actual_access:  read_only
        .address_space:  global
        .offset:         72
        .size:           8
        .value_kind:     global_buffer
      - .address_space:  global
        .offset:         80
        .size:           8
        .value_kind:     global_buffer
    .group_segment_fixed_size: 0
    .kernarg_segment_align: 8
    .kernarg_segment_size: 88
    .language:       OpenCL C
    .language_version:
      - 2
      - 0
    .max_flat_workgroup_size: 224
    .name:           fft_rtc_back_len1792_factors_4_4_4_4_7_wgs_224_tpt_224_halfLds_dp_ip_CI_unitstride_sbrr_dirReg
    .private_segment_fixed_size: 0
    .sgpr_count:     28
    .sgpr_spill_count: 0
    .symbol:         fft_rtc_back_len1792_factors_4_4_4_4_7_wgs_224_tpt_224_halfLds_dp_ip_CI_unitstride_sbrr_dirReg.kd
    .uniform_work_group_size: 1
    .uses_dynamic_stack: false
    .vgpr_count:     97
    .vgpr_spill_count: 0
    .wavefront_size: 32
    .workgroup_processor_mode: 1
amdhsa.target:   amdgcn-amd-amdhsa--gfx1100
amdhsa.version:
  - 1
  - 2
...

	.end_amdgpu_metadata
